;; amdgpu-corpus repo=ROCm/rocFFT kind=compiled arch=gfx1030 opt=O3
	.text
	.amdgcn_target "amdgcn-amd-amdhsa--gfx1030"
	.amdhsa_code_object_version 6
	.protected	fft_rtc_fwd_len160_factors_16_10_wgs_256_tpt_16_halfLds_dp_ip_CI_sbrr_dirReg ; -- Begin function fft_rtc_fwd_len160_factors_16_10_wgs_256_tpt_16_halfLds_dp_ip_CI_sbrr_dirReg
	.globl	fft_rtc_fwd_len160_factors_16_10_wgs_256_tpt_16_halfLds_dp_ip_CI_sbrr_dirReg
	.p2align	8
	.type	fft_rtc_fwd_len160_factors_16_10_wgs_256_tpt_16_halfLds_dp_ip_CI_sbrr_dirReg,@function
fft_rtc_fwd_len160_factors_16_10_wgs_256_tpt_16_halfLds_dp_ip_CI_sbrr_dirReg: ; @fft_rtc_fwd_len160_factors_16_10_wgs_256_tpt_16_halfLds_dp_ip_CI_sbrr_dirReg
; %bb.0:
	s_clause 0x2
	s_load_dwordx2 s[14:15], s[4:5], 0x18
	s_load_dwordx4 s[8:11], s[4:5], 0x0
	s_load_dwordx2 s[12:13], s[4:5], 0x50
	v_lshrrev_b32_e32 v14, 4, v0
	v_mov_b32_e32 v3, 0
	v_mov_b32_e32 v1, 0
	;; [unrolled: 1-line block ×3, first 2 shown]
	v_lshl_or_b32 v5, s6, 4, v14
	v_mov_b32_e32 v6, v3
	s_waitcnt lgkmcnt(0)
	s_load_dwordx2 s[2:3], s[14:15], 0x0
	v_cmp_lt_u64_e64 s0, s[10:11], 2
	s_and_b32 vcc_lo, exec_lo, s0
	s_cbranch_vccnz .LBB0_8
; %bb.1:
	s_load_dwordx2 s[0:1], s[4:5], 0x10
	v_mov_b32_e32 v1, 0
	s_add_u32 s6, s14, 8
	v_mov_b32_e32 v2, 0
	s_addc_u32 s7, s15, 0
	s_mov_b64 s[18:19], 1
	s_waitcnt lgkmcnt(0)
	s_add_u32 s16, s0, 8
	s_addc_u32 s17, s1, 0
.LBB0_2:                                ; =>This Inner Loop Header: Depth=1
	s_load_dwordx2 s[20:21], s[16:17], 0x0
                                        ; implicit-def: $vgpr7_vgpr8
	s_mov_b32 s0, exec_lo
	s_waitcnt lgkmcnt(0)
	v_or_b32_e32 v4, s21, v6
	v_cmpx_ne_u64_e32 0, v[3:4]
	s_xor_b32 s1, exec_lo, s0
	s_cbranch_execz .LBB0_4
; %bb.3:                                ;   in Loop: Header=BB0_2 Depth=1
	v_cvt_f32_u32_e32 v4, s20
	v_cvt_f32_u32_e32 v7, s21
	s_sub_u32 s0, 0, s20
	s_subb_u32 s22, 0, s21
	v_fmac_f32_e32 v4, 0x4f800000, v7
	v_rcp_f32_e32 v4, v4
	v_mul_f32_e32 v4, 0x5f7ffffc, v4
	v_mul_f32_e32 v7, 0x2f800000, v4
	v_trunc_f32_e32 v7, v7
	v_fmac_f32_e32 v4, 0xcf800000, v7
	v_cvt_u32_f32_e32 v7, v7
	v_cvt_u32_f32_e32 v4, v4
	v_mul_lo_u32 v8, s0, v7
	v_mul_hi_u32 v9, s0, v4
	v_mul_lo_u32 v10, s22, v4
	v_add_nc_u32_e32 v8, v9, v8
	v_mul_lo_u32 v9, s0, v4
	v_add_nc_u32_e32 v8, v8, v10
	v_mul_hi_u32 v10, v4, v9
	v_mul_lo_u32 v11, v4, v8
	v_mul_hi_u32 v12, v4, v8
	v_mul_hi_u32 v13, v7, v9
	v_mul_lo_u32 v9, v7, v9
	v_mul_hi_u32 v15, v7, v8
	v_mul_lo_u32 v8, v7, v8
	v_add_co_u32 v10, vcc_lo, v10, v11
	v_add_co_ci_u32_e32 v11, vcc_lo, 0, v12, vcc_lo
	v_add_co_u32 v9, vcc_lo, v10, v9
	v_add_co_ci_u32_e32 v9, vcc_lo, v11, v13, vcc_lo
	v_add_co_ci_u32_e32 v10, vcc_lo, 0, v15, vcc_lo
	v_add_co_u32 v8, vcc_lo, v9, v8
	v_add_co_ci_u32_e32 v9, vcc_lo, 0, v10, vcc_lo
	v_add_co_u32 v4, vcc_lo, v4, v8
	v_add_co_ci_u32_e32 v7, vcc_lo, v7, v9, vcc_lo
	v_mul_hi_u32 v8, s0, v4
	v_mul_lo_u32 v10, s22, v4
	v_mul_lo_u32 v9, s0, v7
	v_add_nc_u32_e32 v8, v8, v9
	v_mul_lo_u32 v9, s0, v4
	v_add_nc_u32_e32 v8, v8, v10
	v_mul_hi_u32 v10, v4, v9
	v_mul_lo_u32 v11, v4, v8
	v_mul_hi_u32 v12, v4, v8
	v_mul_hi_u32 v13, v7, v9
	v_mul_lo_u32 v9, v7, v9
	v_mul_hi_u32 v15, v7, v8
	v_mul_lo_u32 v8, v7, v8
	v_add_co_u32 v10, vcc_lo, v10, v11
	v_add_co_ci_u32_e32 v11, vcc_lo, 0, v12, vcc_lo
	v_add_co_u32 v9, vcc_lo, v10, v9
	v_add_co_ci_u32_e32 v9, vcc_lo, v11, v13, vcc_lo
	v_add_co_ci_u32_e32 v10, vcc_lo, 0, v15, vcc_lo
	v_add_co_u32 v8, vcc_lo, v9, v8
	v_add_co_ci_u32_e32 v9, vcc_lo, 0, v10, vcc_lo
	v_add_co_u32 v4, vcc_lo, v4, v8
	v_add_co_ci_u32_e32 v11, vcc_lo, v7, v9, vcc_lo
	v_mul_hi_u32 v13, v5, v4
	v_mad_u64_u32 v[9:10], null, v6, v4, 0
	v_mad_u64_u32 v[7:8], null, v5, v11, 0
	;; [unrolled: 1-line block ×3, first 2 shown]
	v_add_co_u32 v4, vcc_lo, v13, v7
	v_add_co_ci_u32_e32 v7, vcc_lo, 0, v8, vcc_lo
	v_add_co_u32 v4, vcc_lo, v4, v9
	v_add_co_ci_u32_e32 v4, vcc_lo, v7, v10, vcc_lo
	v_add_co_ci_u32_e32 v7, vcc_lo, 0, v12, vcc_lo
	v_add_co_u32 v4, vcc_lo, v4, v11
	v_add_co_ci_u32_e32 v9, vcc_lo, 0, v7, vcc_lo
	v_mul_lo_u32 v10, s21, v4
	v_mad_u64_u32 v[7:8], null, s20, v4, 0
	v_mul_lo_u32 v11, s20, v9
	v_sub_co_u32 v7, vcc_lo, v5, v7
	v_add3_u32 v8, v8, v11, v10
	v_sub_nc_u32_e32 v10, v6, v8
	v_subrev_co_ci_u32_e64 v10, s0, s21, v10, vcc_lo
	v_add_co_u32 v11, s0, v4, 2
	v_add_co_ci_u32_e64 v12, s0, 0, v9, s0
	v_sub_co_u32 v13, s0, v7, s20
	v_sub_co_ci_u32_e32 v8, vcc_lo, v6, v8, vcc_lo
	v_subrev_co_ci_u32_e64 v10, s0, 0, v10, s0
	v_cmp_le_u32_e32 vcc_lo, s20, v13
	v_cmp_eq_u32_e64 s0, s21, v8
	v_cndmask_b32_e64 v13, 0, -1, vcc_lo
	v_cmp_le_u32_e32 vcc_lo, s21, v10
	v_cndmask_b32_e64 v15, 0, -1, vcc_lo
	v_cmp_le_u32_e32 vcc_lo, s20, v7
	;; [unrolled: 2-line block ×3, first 2 shown]
	v_cndmask_b32_e64 v16, 0, -1, vcc_lo
	v_cmp_eq_u32_e32 vcc_lo, s21, v10
	v_cndmask_b32_e64 v7, v16, v7, s0
	v_cndmask_b32_e32 v10, v15, v13, vcc_lo
	v_add_co_u32 v13, vcc_lo, v4, 1
	v_add_co_ci_u32_e32 v15, vcc_lo, 0, v9, vcc_lo
	v_cmp_ne_u32_e32 vcc_lo, 0, v10
	v_cndmask_b32_e32 v8, v15, v12, vcc_lo
	v_cndmask_b32_e32 v10, v13, v11, vcc_lo
	v_cmp_ne_u32_e32 vcc_lo, 0, v7
	v_cndmask_b32_e32 v8, v9, v8, vcc_lo
	v_cndmask_b32_e32 v7, v4, v10, vcc_lo
.LBB0_4:                                ;   in Loop: Header=BB0_2 Depth=1
	s_andn2_saveexec_b32 s0, s1
	s_cbranch_execz .LBB0_6
; %bb.5:                                ;   in Loop: Header=BB0_2 Depth=1
	v_cvt_f32_u32_e32 v4, s20
	s_sub_i32 s1, 0, s20
	v_rcp_iflag_f32_e32 v4, v4
	v_mul_f32_e32 v4, 0x4f7ffffe, v4
	v_cvt_u32_f32_e32 v4, v4
	v_mul_lo_u32 v7, s1, v4
	v_mul_hi_u32 v7, v4, v7
	v_add_nc_u32_e32 v4, v4, v7
	v_mul_hi_u32 v4, v5, v4
	v_mul_lo_u32 v7, v4, s20
	v_add_nc_u32_e32 v8, 1, v4
	v_sub_nc_u32_e32 v7, v5, v7
	v_subrev_nc_u32_e32 v9, s20, v7
	v_cmp_le_u32_e32 vcc_lo, s20, v7
	v_cndmask_b32_e32 v7, v7, v9, vcc_lo
	v_cndmask_b32_e32 v4, v4, v8, vcc_lo
	v_cmp_le_u32_e32 vcc_lo, s20, v7
	v_add_nc_u32_e32 v8, 1, v4
	v_cndmask_b32_e32 v7, v4, v8, vcc_lo
	v_mov_b32_e32 v8, v3
.LBB0_6:                                ;   in Loop: Header=BB0_2 Depth=1
	s_or_b32 exec_lo, exec_lo, s0
	s_load_dwordx2 s[0:1], s[6:7], 0x0
	v_mul_lo_u32 v4, v8, s20
	v_mul_lo_u32 v11, v7, s21
	v_mad_u64_u32 v[9:10], null, v7, s20, 0
	s_add_u32 s18, s18, 1
	s_addc_u32 s19, s19, 0
	s_add_u32 s6, s6, 8
	s_addc_u32 s7, s7, 0
	;; [unrolled: 2-line block ×3, first 2 shown]
	v_add3_u32 v4, v10, v11, v4
	v_sub_co_u32 v5, vcc_lo, v5, v9
	v_sub_co_ci_u32_e32 v4, vcc_lo, v6, v4, vcc_lo
	s_waitcnt lgkmcnt(0)
	v_mul_lo_u32 v6, s1, v5
	v_mul_lo_u32 v4, s0, v4
	v_mad_u64_u32 v[1:2], null, s0, v5, v[1:2]
	v_cmp_ge_u64_e64 s0, s[18:19], s[10:11]
	s_and_b32 vcc_lo, exec_lo, s0
	v_add3_u32 v2, v6, v2, v4
	s_cbranch_vccnz .LBB0_9
; %bb.7:                                ;   in Loop: Header=BB0_2 Depth=1
	v_mov_b32_e32 v5, v7
	v_mov_b32_e32 v6, v8
	s_branch .LBB0_2
.LBB0_8:
	v_mov_b32_e32 v8, v6
	v_mov_b32_e32 v7, v5
.LBB0_9:
	s_lshl_b64 s[0:1], s[10:11], 3
	v_and_b32_e32 v78, 15, v0
	s_add_u32 s0, s14, s0
	s_addc_u32 s1, s15, s1
	v_mov_b32_e32 v79, 0
	s_load_dwordx2 s[0:1], s[0:1], 0x0
	s_load_dwordx2 s[4:5], s[4:5], 0x20
                                        ; implicit-def: $vgpr30_vgpr31
                                        ; implicit-def: $vgpr26_vgpr27
                                        ; implicit-def: $vgpr18_vgpr19
                                        ; implicit-def: $vgpr34_vgpr35
                                        ; implicit-def: $vgpr38_vgpr39
                                        ; implicit-def: $vgpr22_vgpr23
                                        ; implicit-def: $vgpr46_vgpr47
                                        ; implicit-def: $vgpr58_vgpr59
                                        ; implicit-def: $vgpr42_vgpr43
                                        ; implicit-def: $vgpr66_vgpr67
                                        ; implicit-def: $vgpr50_vgpr51
                                        ; implicit-def: $vgpr62_vgpr63
                                        ; implicit-def: $vgpr54_vgpr55
                                        ; implicit-def: $vgpr12_vgpr13
	s_waitcnt lgkmcnt(0)
	v_mul_lo_u32 v3, s0, v8
	v_mul_lo_u32 v4, s1, v7
	v_mad_u64_u32 v[68:69], null, s0, v7, v[1:2]
	v_cmp_gt_u64_e32 vcc_lo, s[4:5], v[7:8]
                                        ; implicit-def: $vgpr8_vgpr9
	v_add3_u32 v69, v4, v69, v3
                                        ; implicit-def: $vgpr2_vgpr3
	s_and_saveexec_b32 s1, vcc_lo
	s_cbranch_execz .LBB0_13
; %bb.10:
	s_mov_b32 s4, exec_lo
                                        ; implicit-def: $vgpr6_vgpr7
                                        ; implicit-def: $vgpr10_vgpr11
                                        ; implicit-def: $vgpr52_vgpr53
                                        ; implicit-def: $vgpr60_vgpr61
                                        ; implicit-def: $vgpr48_vgpr49
                                        ; implicit-def: $vgpr64_vgpr65
                                        ; implicit-def: $vgpr40_vgpr41
                                        ; implicit-def: $vgpr56_vgpr57
                                        ; implicit-def: $vgpr44_vgpr45
                                        ; implicit-def: $vgpr20_vgpr21
                                        ; implicit-def: $vgpr36_vgpr37
                                        ; implicit-def: $vgpr32_vgpr33
                                        ; implicit-def: $vgpr16_vgpr17
                                        ; implicit-def: $vgpr24_vgpr25
                                        ; implicit-def: $vgpr0_vgpr1
                                        ; implicit-def: $vgpr28_vgpr29
	v_cmpx_gt_u32_e32 10, v78
	s_cbranch_execz .LBB0_12
; %bb.11:
	v_add_nc_u32_e32 v11, 10, v78
	v_add_nc_u32_e32 v13, 20, v78
	v_mad_u64_u32 v[0:1], null, s2, v78, 0
	v_add_nc_u32_e32 v15, 30, v78
	v_mad_u64_u32 v[2:3], null, s2, v11, 0
	v_mad_u64_u32 v[4:5], null, s2, v13, 0
	;; [unrolled: 1-line block ×3, first 2 shown]
	v_add_nc_u32_e32 v19, 50, v78
	v_add_nc_u32_e32 v32, 60, v78
	v_mad_u64_u32 v[6:7], null, s3, v78, v[1:2]
	v_lshlrev_b64 v[7:8], 4, v[68:69]
	v_mov_b32_e32 v1, v3
	v_mov_b32_e32 v3, v5
	;; [unrolled: 1-line block ×3, first 2 shown]
	v_add_nc_u32_e32 v33, 0x46, v78
	v_add_nc_u32_e32 v44, 0x64, v78
	v_mad_u64_u32 v[11:12], null, s3, v11, v[1:2]
	v_mov_b32_e32 v1, v6
	v_add_co_u32 v62, s0, s12, v7
	v_mad_u64_u32 v[6:7], null, s3, v13, v[3:4]
	v_add_nc_u32_e32 v13, 40, v78
	v_add_co_ci_u32_e64 v63, s0, s13, v8, s0
	v_mov_b32_e32 v3, v11
	v_lshlrev_b64 v[0:1], 4, v[0:1]
	v_mad_u64_u32 v[11:12], null, s2, v13, 0
	v_mad_u64_u32 v[7:8], null, s3, v15, v[5:6]
	;; [unrolled: 1-line block ×3, first 2 shown]
	v_mov_b32_e32 v5, v6
	v_lshlrev_b64 v[2:3], 4, v[2:3]
	v_mov_b32_e32 v8, v12
	v_add_co_u32 v0, s0, v62, v0
	v_mov_b32_e32 v10, v7
	v_lshlrev_b64 v[4:5], 4, v[4:5]
	v_add_co_ci_u32_e64 v1, s0, v63, v1, s0
	v_add_co_u32 v2, s0, v62, v2
	v_lshlrev_b64 v[6:7], 4, v[9:10]
	v_mad_u64_u32 v[8:9], null, s3, v13, v[8:9]
	v_mov_b32_e32 v9, v16
	v_add_co_ci_u32_e64 v3, s0, v63, v3, s0
	v_add_co_u32 v4, s0, v62, v4
	v_mad_u64_u32 v[19:20], null, s3, v19, v[9:10]
	v_add_co_ci_u32_e64 v5, s0, v63, v5, s0
	v_mad_u64_u32 v[20:21], null, s2, v32, 0
	v_add_co_u32 v17, s0, v62, v6
	v_mov_b32_e32 v12, v8
	v_mov_b32_e32 v16, v19
	v_add_co_ci_u32_e64 v18, s0, v63, v7, s0
	v_mad_u64_u32 v[22:23], null, s2, v33, 0
	s_clause 0x3
	global_load_dwordx4 v[6:9], v[0:1], off
	global_load_dwordx4 v[28:31], v[2:3], off
	;; [unrolled: 1-line block ×4, first 2 shown]
	v_lshlrev_b64 v[4:5], 4, v[11:12]
	v_lshlrev_b64 v[11:12], 4, v[15:16]
	v_mov_b32_e32 v10, v21
	v_or_b32_e32 v19, 0x50, v78
	v_mov_b32_e32 v13, v23
	v_add_nc_u32_e32 v46, 0x6e, v78
	v_add_co_u32 v4, s0, v62, v4
	v_mad_u64_u32 v[15:16], null, s3, v32, v[10:11]
	v_mad_u64_u32 v[16:17], null, s3, v33, v[13:14]
	;; [unrolled: 1-line block ×3, first 2 shown]
	v_add_nc_u32_e32 v32, 0x5a, v78
	v_add_co_ci_u32_e64 v5, s0, v63, v5, s0
	v_mov_b32_e32 v21, v15
	v_mov_b32_e32 v23, v16
	v_add_co_u32 v10, s0, v62, v11
	v_add_co_ci_u32_e64 v11, s0, v63, v12, s0
	v_lshlrev_b64 v[15:16], 4, v[20:21]
	v_mad_u64_u32 v[20:21], null, s2, v32, 0
	v_mov_b32_e32 v12, v41
	v_lshlrev_b64 v[17:18], 4, v[22:23]
	v_mad_u64_u32 v[42:43], null, s2, v44, 0
	v_add_co_u32 v22, s0, v62, v15
	v_mad_u64_u32 v[12:13], null, s3, v19, v[12:13]
	v_mov_b32_e32 v13, v21
	v_add_co_ci_u32_e64 v23, s0, v63, v16, s0
	v_add_co_u32 v36, s0, v62, v17
	v_add_co_ci_u32_e64 v37, s0, v63, v18, s0
	v_mad_u64_u32 v[15:16], null, s3, v32, v[13:14]
	v_mov_b32_e32 v41, v12
	s_clause 0x3
	global_load_dwordx4 v[16:19], v[4:5], off
	global_load_dwordx4 v[32:35], v[10:11], off
	;; [unrolled: 1-line block ×4, first 2 shown]
	v_mov_b32_e32 v22, v43
	v_add_nc_u32_e32 v52, 0x8c, v78
	v_add_nc_u32_e32 v53, 0x96, v78
	v_lshlrev_b64 v[4:5], 4, v[40:41]
	v_mad_u64_u32 v[40:41], null, s2, v46, 0
	v_mov_b32_e32 v21, v15
	v_mad_u64_u32 v[22:23], null, s3, v44, v[22:23]
	v_add_nc_u32_e32 v23, 0x78, v78
	v_add_co_u32 v4, s0, v62, v4
	v_mov_b32_e32 v15, v41
	v_lshlrev_b64 v[20:21], 4, v[20:21]
	v_mad_u64_u32 v[44:45], null, s2, v23, 0
	v_mov_b32_e32 v43, v22
	v_add_co_ci_u32_e64 v5, s0, v63, v5, s0
	v_mad_u64_u32 v[49:50], null, s2, v52, 0
	s_waitcnt vmcnt(3)
	v_mad_u64_u32 v[46:47], null, s3, v46, v[15:16]
	v_add_co_u32 v47, s0, v62, v20
	v_add_co_ci_u32_e64 v48, s0, v63, v21, s0
	v_lshlrev_b64 v[20:21], 4, v[42:43]
	v_mov_b32_e32 v15, v45
	v_mov_b32_e32 v41, v46
	v_add_nc_u32_e32 v46, 0x82, v78
	v_mad_u64_u32 v[22:23], null, s3, v23, v[15:16]
	v_mad_u64_u32 v[42:43], null, s2, v46, 0
	v_add_co_u32 v56, s0, v62, v20
	v_add_co_ci_u32_e64 v57, s0, v63, v21, s0
	v_lshlrev_b64 v[20:21], 4, v[40:41]
	v_mad_u64_u32 v[40:41], null, s2, v53, 0
	v_mov_b32_e32 v15, v43
	v_mov_b32_e32 v45, v22
	;; [unrolled: 1-line block ×3, first 2 shown]
	v_add_co_u32 v58, s0, v62, v20
	v_mad_u64_u32 v[50:51], null, s3, v46, v[15:16]
	v_mov_b32_e32 v15, v41
	v_mad_u64_u32 v[22:23], null, s3, v52, v[22:23]
	v_add_co_ci_u32_e64 v59, s0, v63, v21, s0
	v_lshlrev_b64 v[20:21], 4, v[44:45]
	v_mad_u64_u32 v[44:45], null, s3, v53, v[15:16]
	v_mov_b32_e32 v43, v50
	v_mov_b32_e32 v50, v22
	v_add_co_u32 v60, s0, v62, v20
	v_lshlrev_b64 v[42:43], 4, v[42:43]
	v_mov_b32_e32 v41, v44
	v_add_co_ci_u32_e64 v61, s0, v63, v21, s0
	s_clause 0x1
	global_load_dwordx4 v[20:23], v[4:5], off
	global_load_dwordx4 v[52:55], v[47:48], off
	v_lshlrev_b64 v[4:5], 4, v[49:50]
	v_add_co_u32 v48, s0, v62, v42
	v_lshlrev_b64 v[40:41], 4, v[40:41]
	v_add_co_ci_u32_e64 v49, s0, v63, v43, s0
	v_add_co_u32 v4, s0, v62, v4
	v_add_co_ci_u32_e64 v5, s0, v63, v5, s0
	v_add_co_u32 v62, s0, v62, v40
	v_add_co_ci_u32_e64 v63, s0, v63, v41, s0
	s_clause 0x5
	global_load_dwordx4 v[44:47], v[56:57], off
	global_load_dwordx4 v[56:59], v[58:59], off
	;; [unrolled: 1-line block ×6, first 2 shown]
.LBB0_12:
	s_or_b32 exec_lo, exec_lo, s4
	v_mov_b32_e32 v79, v78
.LBB0_13:
	s_or_b32 exec_lo, exec_lo, s1
	s_waitcnt vmcnt(6)
	v_add_f64 v[4:5], v[28:29], -v[52:53]
	v_add_f64 v[52:53], v[30:31], -v[54:55]
	s_waitcnt vmcnt(2)
	v_add_f64 v[54:55], v[32:33], -v[64:65]
	v_add_f64 v[56:57], v[24:25], -v[56:57]
	;; [unrolled: 1-line block ×4, first 2 shown]
	s_waitcnt vmcnt(0)
	v_add_f64 v[62:63], v[38:39], -v[62:63]
	v_add_f64 v[60:61], v[36:37], -v[60:61]
	;; [unrolled: 1-line block ×6, first 2 shown]
	s_mov_b32 s0, 0x667f3bcd
	s_mov_b32 s1, 0x3fe6a09e
	;; [unrolled: 1-line block ×4, first 2 shown]
	v_fma_f64 v[28:29], v[28:29], 2.0, -v[4:5]
	v_fma_f64 v[30:31], v[30:31], 2.0, -v[52:53]
	;; [unrolled: 1-line block ×5, first 2 shown]
	v_add_f64 v[80:81], v[4:5], -v[64:65]
	v_add_f64 v[82:83], v[54:55], v[52:53]
	v_add_f64 v[66:67], v[56:57], -v[62:63]
	v_add_f64 v[70:71], v[58:59], v[60:61]
	v_fma_f64 v[38:39], v[38:39], 2.0, -v[62:63]
	v_fma_f64 v[36:37], v[36:37], 2.0, -v[60:61]
	;; [unrolled: 1-line block ×3, first 2 shown]
	v_add_f64 v[62:63], v[44:45], -v[50:51]
	v_add_f64 v[64:65], v[46:47], v[48:49]
	v_add_f64 v[60:61], v[28:29], -v[32:33]
	v_fma_f64 v[84:85], v[4:5], 2.0, -v[80:81]
	v_fma_f64 v[52:53], v[52:53], 2.0, -v[82:83]
	;; [unrolled: 1-line block ×4, first 2 shown]
	v_add_f64 v[38:39], v[26:27], -v[38:39]
	v_add_f64 v[36:37], v[24:25], -v[36:37]
	;; [unrolled: 1-line block ×3, first 2 shown]
	v_fma_f64 v[72:73], v[66:67], s[0:1], v[80:81]
	v_fma_f64 v[74:75], v[70:71], s[0:1], v[82:83]
	v_fma_f64 v[4:5], v[0:1], 2.0, -v[44:45]
	v_fma_f64 v[56:57], v[2:3], 2.0, -v[46:47]
	;; [unrolled: 1-line block ×6, first 2 shown]
	v_mul_f64 v[62:63], v[62:63], s[0:1]
	v_fma_f64 v[0:1], v[28:29], 2.0, -v[60:61]
	v_fma_f64 v[76:77], v[32:33], s[4:5], v[84:85]
	v_fma_f64 v[86:87], v[58:59], s[4:5], v[52:53]
	v_add_f64 v[88:89], v[60:61], -v[38:39]
	v_add_f64 v[90:91], v[36:37], v[34:35]
	v_fma_f64 v[36:37], v[24:25], 2.0, -v[36:37]
	v_fma_f64 v[54:55], v[30:31], 2.0, -v[34:35]
	v_fma_f64 v[30:31], v[26:27], 2.0, -v[38:39]
	v_fma_f64 v[24:25], v[70:71], s[4:5], v[72:73]
	v_fma_f64 v[28:29], v[66:67], s[0:1], v[74:75]
	v_add_f64 v[74:75], v[16:17], -v[40:41]
	v_add_f64 v[66:67], v[56:57], -v[10:11]
	v_mul_f64 v[70:71], v[64:65], s[0:1]
	v_mul_f64 v[64:65], v[12:13], s[0:1]
	;; [unrolled: 1-line block ×3, first 2 shown]
	v_fma_f64 v[26:27], v[58:59], s[4:5], v[76:77]
	v_fma_f64 v[32:33], v[32:33], s[0:1], v[86:87]
	v_fma_f64 v[46:47], v[60:61], 2.0, -v[88:89]
	v_add_f64 v[76:77], v[18:19], -v[42:43]
	v_fma_f64 v[48:49], v[34:35], 2.0, -v[90:91]
	v_add_f64 v[58:59], v[4:5], -v[2:3]
	v_add_f64 v[34:35], v[0:1], -v[36:37]
	;; [unrolled: 1-line block ×3, first 2 shown]
	v_fma_f64 v[30:31], v[80:81], 2.0, -v[24:25]
	v_fma_f64 v[42:43], v[82:83], 2.0, -v[28:29]
	v_mul_f64 v[38:39], v[88:89], s[0:1]
	v_mul_u32_u24_e32 v2, 0xa0, v14
	v_lshlrev_b32_e32 v82, 3, v2
	v_fma_f64 v[36:37], v[84:85], 2.0, -v[26:27]
	v_fma_f64 v[44:45], v[52:53], 2.0, -v[32:33]
	v_mul_f64 v[40:41], v[46:47], s[0:1]
	v_mul_f64 v[46:47], v[48:49], s[0:1]
	;; [unrolled: 1-line block ×3, first 2 shown]
	v_cmp_gt_u32_e64 s0, 10, v78
	s_and_saveexec_b32 s1, s0
	s_cbranch_execz .LBB0_15
; %bb.14:
	v_add_f64 v[2:3], v[6:7], -v[20:21]
	v_fma_f64 v[12:13], v[16:17], 2.0, -v[74:75]
	v_fma_f64 v[4:5], v[4:5], 2.0, -v[58:59]
	s_mov_b32 s5, 0x3fed906b
	s_mov_b32 s4, 0xcf328d46
	;; [unrolled: 1-line block ×6, first 2 shown]
	v_add_f64 v[10:11], v[2:3], -v[76:77]
	v_fma_f64 v[6:7], v[6:7], 2.0, -v[2:3]
	v_fma_f64 v[2:3], v[2:3], 2.0, -v[10:11]
	v_add_f64 v[14:15], v[62:63], v[10:11]
	v_add_f64 v[12:13], v[6:7], -v[12:13]
	v_add_f64 v[16:17], v[2:3], -v[64:65]
	;; [unrolled: 1-line block ×4, first 2 shown]
	v_fma_f64 v[6:7], v[6:7], 2.0, -v[12:13]
	v_fma_f64 v[14:15], v[0:1], 2.0, -v[34:35]
	v_add_f64 v[80:81], v[16:17], -v[72:73]
	v_fma_f64 v[83:84], v[10:11], 2.0, -v[20:21]
	v_fma_f64 v[87:88], v[12:13], 2.0, -v[50:51]
	v_add_f64 v[89:90], v[6:7], -v[4:5]
	v_fma_f64 v[0:1], v[24:25], s[4:5], v[20:21]
	v_add_f64 v[4:5], v[38:39], v[50:51]
	s_mov_b32 s5, 0xbfed906b
	v_fma_f64 v[93:94], v[2:3], 2.0, -v[80:81]
	v_fma_f64 v[10:11], v[30:31], s[6:7], v[83:84]
	v_add_f64 v[12:13], v[87:88], -v[40:41]
	v_fma_f64 v[16:17], v[26:27], s[10:11], v[80:81]
	v_fma_f64 v[91:92], v[6:7], 2.0, -v[89:90]
	v_fma_f64 v[2:3], v[28:29], s[6:7], v[0:1]
	v_add_f64 v[0:1], v[4:5], -v[48:49]
	v_fma_f64 v[52:53], v[36:37], s[4:5], v[93:94]
	v_fma_f64 v[6:7], v[42:43], s[4:5], v[10:11]
	v_add_f64 v[4:5], v[12:13], -v[46:47]
	v_add_f64 v[10:11], v[89:90], -v[60:61]
	v_fma_f64 v[12:13], v[32:33], s[4:5], v[16:17]
	v_add_f64 v[14:15], v[91:92], -v[14:15]
	v_fma_f64 v[50:51], v[50:51], 2.0, -v[0:1]
	v_fma_f64 v[16:17], v[44:45], s[6:7], v[52:53]
	v_fma_f64 v[52:53], v[20:21], 2.0, -v[2:3]
	v_fma_f64 v[85:86], v[83:84], 2.0, -v[6:7]
	;; [unrolled: 1-line block ×6, first 2 shown]
	v_lshlrev_b32_e32 v20, 7, v78
	v_add3_u32 v20, 0, v20, v82
	v_fma_f64 v[93:94], v[93:94], 2.0, -v[16:17]
	ds_write_b128 v20, v[50:53] offset:48
	ds_write_b128 v20, v[4:7] offset:80
	;; [unrolled: 1-line block ×6, first 2 shown]
	ds_write_b128 v20, v[91:94]
	ds_write_b128 v20, v[0:3] offset:112
.LBB0_15:
	s_or_b32 exec_lo, exec_lo, s1
	v_lshlrev_b32_e32 v0, 3, v78
	s_waitcnt lgkmcnt(0)
	s_barrier
	buffer_gl0_inv
	v_add_nc_u32_e32 v20, 0, v0
	v_add3_u32 v80, 0, v82, v0
	v_add_nc_u32_e32 v81, v20, v82
	ds_read2_b64 v[0:3], v81 offset0:16 offset1:32
	ds_read2_b64 v[14:17], v81 offset0:48 offset1:64
	;; [unrolled: 1-line block ×4, first 2 shown]
	ds_read_b64 v[50:51], v80
	ds_read_b64 v[52:53], v81 offset:1152
	s_waitcnt lgkmcnt(0)
	s_barrier
	buffer_gl0_inv
	s_and_saveexec_b32 s1, s0
	s_cbranch_execz .LBB0_17
; %bb.16:
	v_add_f64 v[21:22], v[8:9], -v[22:23]
	v_fma_f64 v[18:19], v[18:19], 2.0, -v[76:77]
	v_fma_f64 v[56:57], v[56:57], 2.0, -v[66:67]
	s_mov_b32 s6, 0xa6aea964
	s_mov_b32 s7, 0x3fd87de2
	;; [unrolled: 1-line block ×6, first 2 shown]
	v_fma_f64 v[54:55], v[54:55], 2.0, -v[60:61]
	v_add_f64 v[74:75], v[74:75], v[21:22]
	v_fma_f64 v[8:9], v[8:9], 2.0, -v[21:22]
	v_fma_f64 v[21:22], v[21:22], 2.0, -v[74:75]
	v_add_f64 v[18:19], v[8:9], -v[18:19]
	v_add_f64 v[70:71], v[74:75], v[70:71]
	v_add_f64 v[72:73], v[21:22], -v[72:73]
	v_add_f64 v[58:59], v[58:59], v[18:19]
	v_add_f64 v[62:63], v[62:63], v[70:71]
	v_fma_f64 v[8:9], v[8:9], 2.0, -v[18:19]
	v_add_f64 v[64:65], v[64:65], v[72:73]
	v_fma_f64 v[18:19], v[18:19], 2.0, -v[58:59]
	v_fma_f64 v[66:67], v[74:75], 2.0, -v[62:63]
	v_add_f64 v[56:57], v[8:9], -v[56:57]
	v_fma_f64 v[70:71], v[21:22], 2.0, -v[64:65]
	v_add_f64 v[21:22], v[48:49], v[58:59]
	v_add_f64 v[46:47], v[18:19], -v[46:47]
	v_fma_f64 v[42:43], v[42:43], s[10:11], v[66:67]
	v_fma_f64 v[48:49], v[32:33], s[6:7], v[64:65]
	v_fma_f64 v[8:9], v[8:9], 2.0, -v[56:57]
	v_fma_f64 v[44:45], v[44:45], s[4:5], v[70:71]
	s_mov_b32 s5, 0x3fed906b
	v_add_f64 v[21:22], v[38:39], v[21:22]
	v_fma_f64 v[60:61], v[28:29], s[4:5], v[62:63]
	v_add_f64 v[38:39], v[40:41], v[46:47]
	v_fma_f64 v[40:41], v[30:31], s[4:5], v[42:43]
	;; [unrolled: 2-line block ×3, first 2 shown]
	v_add_f64 v[32:33], v[8:9], -v[54:55]
	v_fma_f64 v[34:35], v[36:37], s[6:7], v[44:45]
	v_fma_f64 v[46:47], v[58:59], 2.0, -v[21:22]
	v_fma_f64 v[23:24], v[24:25], s[6:7], v[60:61]
	v_fma_f64 v[58:59], v[18:19], 2.0, -v[38:39]
	v_fma_f64 v[60:61], v[66:67], 2.0, -v[40:41]
	;; [unrolled: 1-line block ×5, first 2 shown]
	v_mul_u32_u24_e32 v8, 0x78, v78
	v_add3_u32 v8, v20, v8, v82
	v_fma_f64 v[56:57], v[70:71], 2.0, -v[34:35]
	v_fma_f64 v[48:49], v[62:63], 2.0, -v[23:24]
	ds_write_b128 v8, v[38:41] offset:80
	ds_write_b128 v8, v[28:31] offset:96
	;; [unrolled: 1-line block ×5, first 2 shown]
	ds_write_b128 v8, v[54:57]
	ds_write_b128 v8, v[46:49] offset:48
	ds_write_b128 v8, v[21:24] offset:112
.LBB0_17:
	s_or_b32 exec_lo, exec_lo, s1
	s_waitcnt lgkmcnt(0)
	s_barrier
	buffer_gl0_inv
	s_and_saveexec_b32 s0, vcc_lo
	s_cbranch_execz .LBB0_19
; %bb.18:
	v_mul_u32_u24_e32 v8, 9, v78
	v_or_b32_e32 v78, 16, v79
	v_or_b32_e32 v82, 32, v79
	;; [unrolled: 1-line block ×4, first 2 shown]
	v_lshlrev_b32_e32 v8, 4, v8
	v_or_b32_e32 v85, 0x50, v79
	v_mad_u64_u32 v[74:75], null, s2, v79, 0
	v_or_b32_e32 v84, 64, v79
	s_clause 0x8
	global_load_dwordx4 v[54:57], v8, s[8:9] offset:48
	global_load_dwordx4 v[22:25], v8, s[8:9] offset:32
	;; [unrolled: 1-line block ×8, first 2 shown]
	global_load_dwordx4 v[34:37], v8, s[8:9]
	ds_read2_b64 v[58:61], v81 offset0:48 offset1:64
	ds_read2_b64 v[62:65], v81 offset0:80 offset1:96
	;; [unrolled: 1-line block ×3, first 2 shown]
	v_or_b32_e32 v87, 0x70, v79
	s_mov_b32 s0, 0x134454ff
	s_mov_b32 s1, 0x3fee6f0e
	s_mov_b32 s4, 0x4755a5e
	s_mov_b32 s5, 0x3fe2cf23
	s_mov_b32 s7, 0xbfe2cf23
	s_mov_b32 s6, s4
	s_mov_b32 s8, 0x372fe950
	s_mov_b32 s9, 0x3fd3c6ef
	s_mov_b32 s10, 0x9b97f4a8
	s_mov_b32 s11, 0x3fe9e377
	s_waitcnt vmcnt(8)
	v_mul_f64 v[8:9], v[16:17], v[56:57]
	s_waitcnt lgkmcnt(2)
	v_mul_f64 v[56:57], v[60:61], v[56:57]
	s_waitcnt vmcnt(7)
	v_mul_f64 v[66:67], v[58:59], v[24:25]
	v_mul_f64 v[24:25], v[14:15], v[24:25]
	s_waitcnt vmcnt(6)
	v_mul_f64 v[76:77], v[12:13], v[44:45]
	s_waitcnt lgkmcnt(1)
	v_mul_f64 v[44:45], v[64:65], v[44:45]
	v_fma_f64 v[60:61], v[60:61], v[54:55], v[8:9]
	v_fma_f64 v[16:17], v[16:17], v[54:55], -v[56:57]
	s_waitcnt vmcnt(5)
	v_mul_f64 v[54:55], v[62:63], v[32:33]
	v_mul_f64 v[32:33], v[10:11], v[32:33]
	v_lshlrev_b64 v[8:9], 4, v[68:69]
	v_fma_f64 v[14:15], v[14:15], v[22:23], -v[66:67]
	v_mad_u64_u32 v[56:57], null, s2, v78, 0
	v_fma_f64 v[22:23], v[22:23], v[58:59], v[24:25]
	v_mad_u64_u32 v[24:25], null, s2, v82, 0
	v_mad_u64_u32 v[58:59], null, s2, v83, 0
	v_fma_f64 v[12:13], v[12:13], v[42:43], -v[44:45]
	v_add_co_u32 v95, vcc_lo, s12, v8
	v_add_co_ci_u32_e32 v96, vcc_lo, s13, v9, vcc_lo
	v_mov_b32_e32 v9, v57
	v_fma_f64 v[64:65], v[64:65], v[42:43], v[76:77]
	v_mad_u64_u32 v[42:43], null, s2, v86, 0
	v_mad_u64_u32 v[68:69], null, s2, v85, 0
	v_fma_f64 v[54:55], v[10:11], v[30:31], -v[54:55]
	v_mov_b32_e32 v10, v25
	v_mov_b32_e32 v11, v59
	v_fma_f64 v[30:31], v[30:31], v[62:63], v[32:33]
	v_mov_b32_e32 v8, v75
	v_mad_u64_u32 v[66:67], null, s2, v84, 0
	v_mad_u64_u32 v[62:63], null, s3, v78, v[9:10]
	;; [unrolled: 1-line block ×3, first 2 shown]
	v_mov_b32_e32 v10, v43
	v_mov_b32_e32 v32, v69
	v_mad_u64_u32 v[44:45], null, s2, v87, 0
	v_mov_b32_e32 v57, v62
	v_mov_b32_e32 v25, v67
	v_mad_u64_u32 v[75:76], null, s3, v79, v[8:9]
	v_mad_u64_u32 v[76:77], null, s3, v83, v[11:12]
	;; [unrolled: 1-line block ×3, first 2 shown]
	s_waitcnt vmcnt(4) lgkmcnt(0)
	v_mul_f64 v[10:11], v[70:71], v[28:29]
	v_mul_f64 v[28:29], v[4:5], v[28:29]
	v_mad_u64_u32 v[32:33], null, s3, v85, v[32:33]
	v_or_b32_e32 v33, 0x80, v79
	v_mov_b32_e32 v8, v45
	v_mad_u64_u32 v[77:78], null, s3, v84, v[25:26]
	v_or_b32_e32 v43, 0x90, v79
	v_mad_u64_u32 v[62:63], null, s2, v33, 0
	v_mad_u64_u32 v[83:84], null, s3, v87, v[8:9]
	v_mov_b32_e32 v25, v9
	v_mov_b32_e32 v69, v32
	;; [unrolled: 1-line block ×3, first 2 shown]
	s_waitcnt vmcnt(3)
	v_mul_f64 v[84:85], v[6:7], v[20:21]
	v_mov_b32_e32 v8, v63
	v_mov_b32_e32 v67, v77
	ds_read_b64 v[76:77], v80
	v_mul_f64 v[20:21], v[72:73], v[20:21]
	v_mov_b32_e32 v45, v83
	v_fma_f64 v[4:5], v[4:5], v[26:27], -v[10:11]
	v_fma_f64 v[26:27], v[26:27], v[70:71], v[28:29]
	ds_read_b64 v[28:29], v81 offset:1152
	v_mad_u64_u32 v[78:79], null, s3, v33, v[8:9]
	ds_read2_b64 v[8:11], v81 offset0:16 offset1:32
	v_mad_u64_u32 v[70:71], null, s2, v43, 0
	v_lshlrev_b64 v[56:57], 4, v[56:57]
	v_lshlrev_b64 v[24:25], 4, v[24:25]
	v_add_f64 v[89:90], v[60:61], v[64:65]
	v_mov_b32_e32 v63, v78
	s_mov_b32 s2, s0
	v_lshlrev_b64 v[58:59], 4, v[58:59]
	v_mov_b32_e32 v32, v71
	v_lshlrev_b64 v[66:67], 4, v[66:67]
	v_fma_f64 v[83:84], v[72:73], v[18:19], v[84:85]
	v_lshlrev_b64 v[72:73], 4, v[74:75]
	v_lshlrev_b64 v[68:69], 4, v[68:69]
	v_mad_u64_u32 v[32:33], null, s3, v43, v[32:33]
	v_mov_b32_e32 v43, v82
	s_waitcnt vmcnt(2) lgkmcnt(1)
	v_mul_f64 v[79:80], v[28:29], v[48:49]
	s_waitcnt vmcnt(1)
	v_mul_f64 v[81:82], v[2:3], v[40:41]
	v_mul_f64 v[48:49], v[52:53], v[48:49]
	s_waitcnt lgkmcnt(0)
	v_mul_f64 v[40:41], v[10:11], v[40:41]
	v_fma_f64 v[6:7], v[6:7], v[18:19], -v[20:21]
	v_mov_b32_e32 v71, v32
	s_waitcnt vmcnt(0)
	v_mul_f64 v[32:33], v[8:9], v[36:37]
	v_mul_f64 v[36:37], v[0:1], v[36:37]
	s_mov_b32 s3, 0xbfee6f0e
	v_lshlrev_b64 v[42:43], 4, v[42:43]
	v_fma_f64 v[89:90], v[89:90], -0.5, v[76:77]
	v_lshlrev_b64 v[44:45], 4, v[44:45]
	v_lshlrev_b64 v[62:63], 4, v[62:63]
	;; [unrolled: 1-line block ×3, first 2 shown]
	v_add_f64 v[20:21], v[83:84], -v[64:65]
	v_fma_f64 v[52:53], v[52:53], v[46:47], -v[79:80]
	v_fma_f64 v[10:11], v[10:11], v[38:39], v[81:82]
	v_fma_f64 v[28:29], v[46:47], v[28:29], v[48:49]
	v_fma_f64 v[2:3], v[2:3], v[38:39], -v[40:41]
	v_add_co_u32 v46, vcc_lo, v95, v72
	v_add_co_ci_u32_e32 v47, vcc_lo, v96, v73, vcc_lo
	v_add_co_u32 v40, vcc_lo, v95, v56
	v_add_co_ci_u32_e32 v41, vcc_lo, v96, v57, vcc_lo
	;; [unrolled: 2-line block ×3, first 2 shown]
	v_fma_f64 v[0:1], v[0:1], v[34:35], -v[32:33]
	v_fma_f64 v[8:9], v[34:35], v[8:9], v[36:37]
	v_add_f64 v[24:25], v[14:15], -v[54:55]
	v_add_f64 v[34:35], v[22:23], -v[30:31]
	;; [unrolled: 1-line block ×13, first 2 shown]
	v_add_co_u32 v58, vcc_lo, v95, v58
	v_add_co_ci_u32_e32 v59, vcc_lo, v96, v59, vcc_lo
	v_add_co_u32 v66, vcc_lo, v95, v66
	v_add_co_ci_u32_e32 v67, vcc_lo, v96, v67, vcc_lo
	;; [unrolled: 2-line block ×3, first 2 shown]
	v_add_co_u32 v42, vcc_lo, v95, v42
	v_add_f64 v[18:19], v[18:19], v[20:21]
	v_add_f64 v[20:21], v[54:55], v[4:5]
	;; [unrolled: 1-line block ×11, first 2 shown]
	v_add_f64 v[80:81], v[16:17], -v[2:3]
	v_add_f64 v[85:86], v[85:86], v[87:88]
	v_add_f64 v[87:88], v[12:13], -v[6:7]
	v_add_co_ci_u32_e32 v43, vcc_lo, v96, v43, vcc_lo
	v_add_co_u32 v44, vcc_lo, v95, v44
	v_add_co_ci_u32_e32 v45, vcc_lo, v96, v45, vcc_lo
	v_fma_f64 v[20:21], v[20:21], -0.5, v[0:1]
	v_fma_f64 v[32:33], v[32:33], -0.5, v[8:9]
	v_fma_f64 v[36:37], v[36:37], -0.5, v[76:77]
	v_add_f64 v[76:77], v[10:11], v[76:77]
	v_fma_f64 v[56:57], v[56:57], -0.5, v[8:9]
	v_add_f64 v[8:9], v[22:23], v[8:9]
	v_fma_f64 v[74:75], v[74:75], -0.5, v[0:1]
	v_add_f64 v[0:1], v[14:15], v[0:1]
	v_add_f64 v[14:15], v[14:15], -v[52:53]
	v_add_f64 v[22:23], v[22:23], -v[28:29]
	v_add_f64 v[80:81], v[80:81], v[87:88]
	v_add_f64 v[87:88], v[54:55], -v[4:5]
	v_add_f64 v[10:11], v[10:11], -v[83:84]
	v_add_f64 v[76:77], v[60:61], v[76:77]
	v_add_f64 v[60:61], v[60:61], -v[64:65]
	v_add_f64 v[8:9], v[30:31], v[8:9]
	;; [unrolled: 2-line block ×3, first 2 shown]
	v_fma_f64 v[91:92], v[22:23], s[2:3], v[20:21]
	v_fma_f64 v[20:21], v[22:23], s[0:1], v[20:21]
	;; [unrolled: 1-line block ×4, first 2 shown]
	v_add_f64 v[64:65], v[64:65], v[76:77]
	v_fma_f64 v[76:77], v[14:15], s[0:1], v[32:33]
	v_fma_f64 v[32:33], v[14:15], s[2:3], v[32:33]
	v_add_f64 v[8:9], v[26:27], v[8:9]
	v_add_f64 v[0:1], v[4:5], v[0:1]
	v_fma_f64 v[20:21], v[30:31], s[4:5], v[20:21]
	v_fma_f64 v[54:55], v[14:15], s[4:5], v[54:55]
	;; [unrolled: 1-line block ×6, first 2 shown]
	v_add_f64 v[8:9], v[28:29], v[8:9]
	v_add_f64 v[28:29], v[52:53], v[0:1]
	v_fma_f64 v[20:21], v[24:25], s[8:9], v[20:21]
	v_fma_f64 v[54:55], v[78:79], s[8:9], v[54:55]
	;; [unrolled: 1-line block ×6, first 2 shown]
	v_add_f64 v[76:77], v[16:17], v[12:13]
	v_fma_f64 v[87:88], v[30:31], s[6:7], v[91:92]
	v_add_f64 v[30:31], v[2:3], v[6:7]
	v_fma_f64 v[32:33], v[34:35], s[8:9], v[32:33]
	v_fma_f64 v[56:57], v[72:73], s[8:9], v[56:57]
	v_fma_f64 v[22:23], v[72:73], s[8:9], v[22:23]
	v_fma_f64 v[74:75], v[34:35], s[8:9], v[74:75]
	v_fma_f64 v[76:77], v[76:77], -0.5, v[50:51]
	v_fma_f64 v[87:88], v[24:25], s[8:9], v[87:88]
	v_fma_f64 v[30:31], v[30:31], -0.5, v[50:51]
	v_add_f64 v[50:51], v[50:51], v[2:3]
	v_add_f64 v[2:3], v[2:3], -v[6:7]
	v_fma_f64 v[34:35], v[10:11], s[2:3], v[76:77]
	v_fma_f64 v[76:77], v[10:11], s[0:1], v[76:77]
	;; [unrolled: 1-line block ×3, first 2 shown]
	v_add_f64 v[50:51], v[50:51], v[16:17]
	v_add_f64 v[16:17], v[16:17], -v[12:13]
	v_fma_f64 v[78:79], v[2:3], s[0:1], v[89:90]
	v_fma_f64 v[89:90], v[2:3], s[2:3], v[89:90]
	;; [unrolled: 1-line block ×5, first 2 shown]
	v_add_f64 v[12:13], v[50:51], v[12:13]
	v_fma_f64 v[72:73], v[16:17], s[2:3], v[36:37]
	v_fma_f64 v[36:37], v[16:17], s[0:1], v[36:37]
	;; [unrolled: 1-line block ×4, first 2 shown]
	v_mul_f64 v[50:51], v[74:75], s[10:11]
	v_fma_f64 v[10:11], v[10:11], s[4:5], v[30:31]
	v_fma_f64 v[30:31], v[60:61], s[4:5], v[76:77]
	v_mul_f64 v[60:61], v[20:21], s[6:7]
	v_mul_f64 v[76:77], v[87:88], s[10:11]
	;; [unrolled: 1-line block ×4, first 2 shown]
	v_fma_f64 v[91:92], v[85:86], s[8:9], v[34:35]
	v_fma_f64 v[93:94], v[80:81], s[8:9], v[24:25]
	v_add_f64 v[12:13], v[6:7], v[12:13]
	v_fma_f64 v[26:27], v[2:3], s[4:5], v[72:73]
	v_fma_f64 v[2:3], v[2:3], s[6:7], v[36:37]
	v_add_f64 v[36:37], v[83:84], v[64:65]
	v_mul_f64 v[64:65], v[54:55], s[8:9]
	v_mul_f64 v[72:73], v[22:23], s[2:3]
	;; [unrolled: 1-line block ×3, first 2 shown]
	v_fma_f64 v[16:17], v[18:19], s[8:9], v[16:17]
	v_fma_f64 v[24:25], v[87:88], s[6:7], -v[50:51]
	v_fma_f64 v[60:61], v[32:33], s[10:11], v[60:61]
	v_fma_f64 v[52:53], v[18:19], s[8:9], v[4:5]
	v_fma_f64 v[54:55], v[54:55], s[0:1], -v[89:90]
	v_add_f64 v[4:5], v[12:13], v[28:29]
	v_fma_f64 v[26:27], v[38:39], s[8:9], v[26:27]
	v_fma_f64 v[38:39], v[38:39], s[8:9], v[2:3]
	v_add_f64 v[6:7], v[36:37], v[8:9]
	v_fma_f64 v[34:35], v[56:57], s[2:3], -v[64:65]
	v_fma_f64 v[50:51], v[14:15], s[8:9], v[72:73]
	v_fma_f64 v[64:65], v[85:86], s[8:9], v[30:31]
	v_fma_f64 v[72:73], v[74:75], s[4:5], -v[76:77]
	v_fma_f64 v[74:75], v[20:21], s[10:11], v[78:79]
	v_fma_f64 v[56:57], v[80:81], s[8:9], v[10:11]
	;; [unrolled: 1-line block ×3, first 2 shown]
	v_add_f64 v[0:1], v[12:13], -v[28:29]
	v_add_f64 v[10:11], v[52:53], -v[24:25]
	v_add_f64 v[22:23], v[52:53], v[24:25]
	v_add_f64 v[24:25], v[93:94], v[54:55]
	v_add_f64 v[2:3], v[36:37], -v[8:9]
	v_add_f64 v[12:13], v[93:94], -v[54:55]
	;; [unrolled: 1-line block ×3, first 2 shown]
	v_add_f64 v[26:27], v[26:27], v[34:35]
	v_add_f64 v[34:35], v[16:17], v[60:61]
	;; [unrolled: 1-line block ×6, first 2 shown]
	v_add_f64 v[18:19], v[38:39], -v[50:51]
	v_add_f64 v[38:39], v[16:17], -v[60:61]
	;; [unrolled: 1-line block ×5, first 2 shown]
	v_add_co_u32 v50, vcc_lo, v95, v62
	v_add_co_ci_u32_e32 v51, vcc_lo, v96, v63, vcc_lo
	v_add_co_u32 v52, vcc_lo, v95, v70
	v_add_co_ci_u32_e32 v53, vcc_lo, v96, v71, vcc_lo
	global_store_dwordx4 v[46:47], v[4:7], off
	global_store_dwordx4 v[40:41], v[32:35], off
	;; [unrolled: 1-line block ×10, first 2 shown]
.LBB0_19:
	s_endpgm
	.section	.rodata,"a",@progbits
	.p2align	6, 0x0
	.amdhsa_kernel fft_rtc_fwd_len160_factors_16_10_wgs_256_tpt_16_halfLds_dp_ip_CI_sbrr_dirReg
		.amdhsa_group_segment_fixed_size 0
		.amdhsa_private_segment_fixed_size 0
		.amdhsa_kernarg_size 88
		.amdhsa_user_sgpr_count 6
		.amdhsa_user_sgpr_private_segment_buffer 1
		.amdhsa_user_sgpr_dispatch_ptr 0
		.amdhsa_user_sgpr_queue_ptr 0
		.amdhsa_user_sgpr_kernarg_segment_ptr 1
		.amdhsa_user_sgpr_dispatch_id 0
		.amdhsa_user_sgpr_flat_scratch_init 0
		.amdhsa_user_sgpr_private_segment_size 0
		.amdhsa_wavefront_size32 1
		.amdhsa_uses_dynamic_stack 0
		.amdhsa_system_sgpr_private_segment_wavefront_offset 0
		.amdhsa_system_sgpr_workgroup_id_x 1
		.amdhsa_system_sgpr_workgroup_id_y 0
		.amdhsa_system_sgpr_workgroup_id_z 0
		.amdhsa_system_sgpr_workgroup_info 0
		.amdhsa_system_vgpr_workitem_id 0
		.amdhsa_next_free_vgpr 97
		.amdhsa_next_free_sgpr 23
		.amdhsa_reserve_vcc 1
		.amdhsa_reserve_flat_scratch 0
		.amdhsa_float_round_mode_32 0
		.amdhsa_float_round_mode_16_64 0
		.amdhsa_float_denorm_mode_32 3
		.amdhsa_float_denorm_mode_16_64 3
		.amdhsa_dx10_clamp 1
		.amdhsa_ieee_mode 1
		.amdhsa_fp16_overflow 0
		.amdhsa_workgroup_processor_mode 1
		.amdhsa_memory_ordered 1
		.amdhsa_forward_progress 0
		.amdhsa_shared_vgpr_count 0
		.amdhsa_exception_fp_ieee_invalid_op 0
		.amdhsa_exception_fp_denorm_src 0
		.amdhsa_exception_fp_ieee_div_zero 0
		.amdhsa_exception_fp_ieee_overflow 0
		.amdhsa_exception_fp_ieee_underflow 0
		.amdhsa_exception_fp_ieee_inexact 0
		.amdhsa_exception_int_div_zero 0
	.end_amdhsa_kernel
	.text
.Lfunc_end0:
	.size	fft_rtc_fwd_len160_factors_16_10_wgs_256_tpt_16_halfLds_dp_ip_CI_sbrr_dirReg, .Lfunc_end0-fft_rtc_fwd_len160_factors_16_10_wgs_256_tpt_16_halfLds_dp_ip_CI_sbrr_dirReg
                                        ; -- End function
	.section	.AMDGPU.csdata,"",@progbits
; Kernel info:
; codeLenInByte = 6236
; NumSgprs: 25
; NumVgprs: 97
; ScratchSize: 0
; MemoryBound: 1
; FloatMode: 240
; IeeeMode: 1
; LDSByteSize: 0 bytes/workgroup (compile time only)
; SGPRBlocks: 3
; VGPRBlocks: 12
; NumSGPRsForWavesPerEU: 25
; NumVGPRsForWavesPerEU: 97
; Occupancy: 9
; WaveLimiterHint : 1
; COMPUTE_PGM_RSRC2:SCRATCH_EN: 0
; COMPUTE_PGM_RSRC2:USER_SGPR: 6
; COMPUTE_PGM_RSRC2:TRAP_HANDLER: 0
; COMPUTE_PGM_RSRC2:TGID_X_EN: 1
; COMPUTE_PGM_RSRC2:TGID_Y_EN: 0
; COMPUTE_PGM_RSRC2:TGID_Z_EN: 0
; COMPUTE_PGM_RSRC2:TIDIG_COMP_CNT: 0
	.text
	.p2alignl 6, 3214868480
	.fill 48, 4, 3214868480
	.type	__hip_cuid_9f7dd038f7798d6d,@object ; @__hip_cuid_9f7dd038f7798d6d
	.section	.bss,"aw",@nobits
	.globl	__hip_cuid_9f7dd038f7798d6d
__hip_cuid_9f7dd038f7798d6d:
	.byte	0                               ; 0x0
	.size	__hip_cuid_9f7dd038f7798d6d, 1

	.ident	"AMD clang version 19.0.0git (https://github.com/RadeonOpenCompute/llvm-project roc-6.4.0 25133 c7fe45cf4b819c5991fe208aaa96edf142730f1d)"
	.section	".note.GNU-stack","",@progbits
	.addrsig
	.addrsig_sym __hip_cuid_9f7dd038f7798d6d
	.amdgpu_metadata
---
amdhsa.kernels:
  - .args:
      - .actual_access:  read_only
        .address_space:  global
        .offset:         0
        .size:           8
        .value_kind:     global_buffer
      - .offset:         8
        .size:           8
        .value_kind:     by_value
      - .actual_access:  read_only
        .address_space:  global
        .offset:         16
        .size:           8
        .value_kind:     global_buffer
      - .actual_access:  read_only
        .address_space:  global
        .offset:         24
        .size:           8
        .value_kind:     global_buffer
      - .offset:         32
        .size:           8
        .value_kind:     by_value
      - .actual_access:  read_only
        .address_space:  global
        .offset:         40
        .size:           8
        .value_kind:     global_buffer
      - .actual_access:  read_only
        .address_space:  global
        .offset:         48
        .size:           8
        .value_kind:     global_buffer
      - .offset:         56
        .size:           4
        .value_kind:     by_value
      - .actual_access:  read_only
        .address_space:  global
        .offset:         64
        .size:           8
        .value_kind:     global_buffer
      - .actual_access:  read_only
        .address_space:  global
        .offset:         72
        .size:           8
        .value_kind:     global_buffer
      - .address_space:  global
        .offset:         80
        .size:           8
        .value_kind:     global_buffer
    .group_segment_fixed_size: 0
    .kernarg_segment_align: 8
    .kernarg_segment_size: 88
    .language:       OpenCL C
    .language_version:
      - 2
      - 0
    .max_flat_workgroup_size: 256
    .name:           fft_rtc_fwd_len160_factors_16_10_wgs_256_tpt_16_halfLds_dp_ip_CI_sbrr_dirReg
    .private_segment_fixed_size: 0
    .sgpr_count:     25
    .sgpr_spill_count: 0
    .symbol:         fft_rtc_fwd_len160_factors_16_10_wgs_256_tpt_16_halfLds_dp_ip_CI_sbrr_dirReg.kd
    .uniform_work_group_size: 1
    .uses_dynamic_stack: false
    .vgpr_count:     97
    .vgpr_spill_count: 0
    .wavefront_size: 32
    .workgroup_processor_mode: 1
amdhsa.target:   amdgcn-amd-amdhsa--gfx1030
amdhsa.version:
  - 1
  - 2
...

	.end_amdgpu_metadata
